;; amdgpu-corpus repo=ROCm/rocFFT kind=compiled arch=gfx950 opt=O3
	.text
	.amdgcn_target "amdgcn-amd-amdhsa--gfx950"
	.amdhsa_code_object_version 6
	.protected	fft_rtc_back_len768_factors_16_3_16_wgs_48_tpt_48_halfLds_sp_op_CI_CI_unitstride_sbrr_dirReg ; -- Begin function fft_rtc_back_len768_factors_16_3_16_wgs_48_tpt_48_halfLds_sp_op_CI_CI_unitstride_sbrr_dirReg
	.globl	fft_rtc_back_len768_factors_16_3_16_wgs_48_tpt_48_halfLds_sp_op_CI_CI_unitstride_sbrr_dirReg
	.p2align	8
	.type	fft_rtc_back_len768_factors_16_3_16_wgs_48_tpt_48_halfLds_sp_op_CI_CI_unitstride_sbrr_dirReg,@function
fft_rtc_back_len768_factors_16_3_16_wgs_48_tpt_48_halfLds_sp_op_CI_CI_unitstride_sbrr_dirReg: ; @fft_rtc_back_len768_factors_16_3_16_wgs_48_tpt_48_halfLds_sp_op_CI_CI_unitstride_sbrr_dirReg
; %bb.0:
	s_load_dwordx4 s[4:7], s[0:1], 0x58
	s_load_dwordx4 s[8:11], s[0:1], 0x0
	;; [unrolled: 1-line block ×3, first 2 shown]
	v_mul_u32_u24_e32 v1, 0x556, v0
	v_add_u32_sdwa v8, s2, v1 dst_sel:DWORD dst_unused:UNUSED_PAD src0_sel:DWORD src1_sel:WORD_1
	v_mov_b32_e32 v4, 0
	s_waitcnt lgkmcnt(0)
	v_cmp_lt_u64_e64 s[2:3], s[10:11], 2
	v_mov_b32_e32 v9, v4
	s_and_b64 vcc, exec, s[2:3]
	v_mov_b64_e32 v[10:11], 0
	s_cbranch_vccnz .LBB0_8
; %bb.1:
	s_load_dwordx2 s[2:3], s[0:1], 0x10
	s_add_u32 s16, s14, 8
	s_addc_u32 s17, s15, 0
	s_add_u32 s18, s12, 8
	s_addc_u32 s19, s13, 0
	s_waitcnt lgkmcnt(0)
	s_add_u32 s20, s2, 8
	v_mov_b64_e32 v[10:11], 0
	s_addc_u32 s21, s3, 0
	s_mov_b64 s[22:23], 1
	v_mov_b64_e32 v[2:3], v[10:11]
.LBB0_2:                                ; =>This Inner Loop Header: Depth=1
	s_load_dwordx2 s[24:25], s[20:21], 0x0
                                        ; implicit-def: $vgpr6_vgpr7
	s_waitcnt lgkmcnt(0)
	v_or_b32_e32 v5, s25, v9
	v_cmp_ne_u64_e32 vcc, 0, v[4:5]
	s_and_saveexec_b64 s[2:3], vcc
	s_xor_b64 s[26:27], exec, s[2:3]
	s_cbranch_execz .LBB0_4
; %bb.3:                                ;   in Loop: Header=BB0_2 Depth=1
	v_cvt_f32_u32_e32 v1, s24
	v_cvt_f32_u32_e32 v5, s25
	s_sub_u32 s2, 0, s24
	s_subb_u32 s3, 0, s25
	v_fmac_f32_e32 v1, 0x4f800000, v5
	v_rcp_f32_e32 v1, v1
	s_nop 0
	v_mul_f32_e32 v1, 0x5f7ffffc, v1
	v_mul_f32_e32 v5, 0x2f800000, v1
	v_trunc_f32_e32 v5, v5
	v_fmac_f32_e32 v1, 0xcf800000, v5
	v_cvt_u32_f32_e32 v5, v5
	v_cvt_u32_f32_e32 v1, v1
	v_mul_lo_u32 v6, s2, v5
	v_mul_hi_u32 v12, s2, v1
	v_mul_lo_u32 v7, s3, v1
	v_add_u32_e32 v12, v12, v6
	v_mul_lo_u32 v14, s2, v1
	v_add_u32_e32 v15, v12, v7
	v_mul_hi_u32 v6, v1, v14
	v_mul_hi_u32 v13, v1, v15
	v_mul_lo_u32 v12, v1, v15
	v_mov_b32_e32 v7, v4
	v_lshl_add_u64 v[6:7], v[6:7], 0, v[12:13]
	v_mul_hi_u32 v13, v5, v14
	v_mul_lo_u32 v14, v5, v14
	v_add_co_u32_e32 v6, vcc, v6, v14
	v_mul_hi_u32 v12, v5, v15
	s_nop 0
	v_addc_co_u32_e32 v6, vcc, v7, v13, vcc
	v_mov_b32_e32 v7, v4
	s_nop 0
	v_addc_co_u32_e32 v13, vcc, 0, v12, vcc
	v_mul_lo_u32 v12, v5, v15
	v_lshl_add_u64 v[6:7], v[6:7], 0, v[12:13]
	v_add_co_u32_e32 v1, vcc, v1, v6
	v_mul_lo_u32 v12, s2, v1
	s_nop 0
	v_addc_co_u32_e32 v5, vcc, v5, v7, vcc
	v_mul_lo_u32 v6, s2, v5
	v_mul_hi_u32 v7, s2, v1
	v_add_u32_e32 v6, v7, v6
	v_mul_lo_u32 v7, s3, v1
	v_add_u32_e32 v14, v6, v7
	v_mul_hi_u32 v16, v5, v12
	v_mul_lo_u32 v17, v5, v12
	v_mul_hi_u32 v7, v1, v14
	v_mul_lo_u32 v6, v1, v14
	v_mul_hi_u32 v12, v1, v12
	v_mov_b32_e32 v13, v4
	v_lshl_add_u64 v[6:7], v[12:13], 0, v[6:7]
	v_add_co_u32_e32 v6, vcc, v6, v17
	v_mul_hi_u32 v15, v5, v14
	s_nop 0
	v_addc_co_u32_e32 v6, vcc, v7, v16, vcc
	v_mul_lo_u32 v12, v5, v14
	s_nop 0
	v_addc_co_u32_e32 v13, vcc, 0, v15, vcc
	v_mov_b32_e32 v7, v4
	v_lshl_add_u64 v[6:7], v[6:7], 0, v[12:13]
	v_add_co_u32_e32 v1, vcc, v1, v6
	v_mul_hi_u32 v12, v8, v1
	s_nop 0
	v_addc_co_u32_e32 v5, vcc, v5, v7, vcc
	v_mad_u64_u32 v[6:7], s[2:3], v8, v5, 0
	v_mov_b32_e32 v13, v4
	v_lshl_add_u64 v[6:7], v[12:13], 0, v[6:7]
	v_mad_u64_u32 v[14:15], s[2:3], v9, v1, 0
	v_add_co_u32_e32 v1, vcc, v6, v14
	v_mad_u64_u32 v[12:13], s[2:3], v9, v5, 0
	s_nop 0
	v_addc_co_u32_e32 v6, vcc, v7, v15, vcc
	v_mov_b32_e32 v7, v4
	s_nop 0
	v_addc_co_u32_e32 v13, vcc, 0, v13, vcc
	v_lshl_add_u64 v[6:7], v[6:7], 0, v[12:13]
	v_mul_lo_u32 v1, s25, v6
	v_mul_lo_u32 v5, s24, v7
	v_mad_u64_u32 v[12:13], s[2:3], s24, v6, 0
	v_add3_u32 v1, v13, v5, v1
	v_sub_u32_e32 v5, v9, v1
	v_mov_b32_e32 v13, s25
	v_sub_co_u32_e32 v16, vcc, v8, v12
	v_lshl_add_u64 v[14:15], v[6:7], 0, 1
	s_nop 0
	v_subb_co_u32_e64 v5, s[2:3], v5, v13, vcc
	v_subrev_co_u32_e64 v12, s[2:3], s24, v16
	v_subb_co_u32_e32 v1, vcc, v9, v1, vcc
	s_nop 0
	v_subbrev_co_u32_e64 v5, s[2:3], 0, v5, s[2:3]
	v_cmp_le_u32_e64 s[2:3], s25, v5
	v_cmp_le_u32_e32 vcc, s25, v1
	s_nop 0
	v_cndmask_b32_e64 v13, 0, -1, s[2:3]
	v_cmp_le_u32_e64 s[2:3], s24, v12
	s_nop 1
	v_cndmask_b32_e64 v12, 0, -1, s[2:3]
	v_cmp_eq_u32_e64 s[2:3], s25, v5
	s_nop 1
	v_cndmask_b32_e64 v5, v13, v12, s[2:3]
	v_lshl_add_u64 v[12:13], v[6:7], 0, 2
	v_cmp_ne_u32_e64 s[2:3], 0, v5
	s_nop 1
	v_cndmask_b32_e64 v5, v15, v13, s[2:3]
	v_cndmask_b32_e64 v13, 0, -1, vcc
	v_cmp_le_u32_e32 vcc, s24, v16
	s_nop 1
	v_cndmask_b32_e64 v15, 0, -1, vcc
	v_cmp_eq_u32_e32 vcc, s25, v1
	s_nop 1
	v_cndmask_b32_e32 v1, v13, v15, vcc
	v_cmp_ne_u32_e32 vcc, 0, v1
	v_cndmask_b32_e64 v1, v14, v12, s[2:3]
	s_nop 0
	v_cndmask_b32_e32 v7, v7, v5, vcc
	v_cndmask_b32_e32 v6, v6, v1, vcc
.LBB0_4:                                ;   in Loop: Header=BB0_2 Depth=1
	s_andn2_saveexec_b64 s[2:3], s[26:27]
	s_cbranch_execz .LBB0_6
; %bb.5:                                ;   in Loop: Header=BB0_2 Depth=1
	v_cvt_f32_u32_e32 v1, s24
	s_sub_i32 s26, 0, s24
	v_rcp_iflag_f32_e32 v1, v1
	s_nop 0
	v_mul_f32_e32 v1, 0x4f7ffffe, v1
	v_cvt_u32_f32_e32 v1, v1
	v_mul_lo_u32 v5, s26, v1
	v_mul_hi_u32 v5, v1, v5
	v_add_u32_e32 v1, v1, v5
	v_mul_hi_u32 v1, v8, v1
	v_mul_lo_u32 v5, v1, s24
	v_sub_u32_e32 v5, v8, v5
	v_add_u32_e32 v6, 1, v1
	v_subrev_u32_e32 v7, s24, v5
	v_cmp_le_u32_e32 vcc, s24, v5
	s_nop 1
	v_cndmask_b32_e32 v5, v5, v7, vcc
	v_cndmask_b32_e32 v1, v1, v6, vcc
	v_add_u32_e32 v6, 1, v1
	v_cmp_le_u32_e32 vcc, s24, v5
	v_mov_b32_e32 v7, v4
	s_nop 0
	v_cndmask_b32_e32 v6, v1, v6, vcc
.LBB0_6:                                ;   in Loop: Header=BB0_2 Depth=1
	s_or_b64 exec, exec, s[2:3]
	v_mad_u64_u32 v[12:13], s[2:3], v6, s24, 0
	s_load_dwordx2 s[2:3], s[18:19], 0x0
	v_mul_lo_u32 v1, v7, s24
	v_mul_lo_u32 v5, v6, s25
	s_load_dwordx2 s[24:25], s[16:17], 0x0
	s_add_u32 s22, s22, 1
	v_add3_u32 v1, v13, v5, v1
	v_sub_co_u32_e32 v5, vcc, v8, v12
	s_addc_u32 s23, s23, 0
	s_nop 0
	v_subb_co_u32_e32 v1, vcc, v9, v1, vcc
	s_add_u32 s16, s16, 8
	s_waitcnt lgkmcnt(0)
	v_mul_lo_u32 v8, s2, v1
	v_mul_lo_u32 v9, s3, v5
	v_mad_u64_u32 v[10:11], s[2:3], s2, v5, v[10:11]
	s_addc_u32 s17, s17, 0
	v_add3_u32 v11, v9, v11, v8
	v_mul_lo_u32 v1, s24, v1
	v_mul_lo_u32 v8, s25, v5
	v_mad_u64_u32 v[2:3], s[2:3], s24, v5, v[2:3]
	s_add_u32 s18, s18, 8
	v_add3_u32 v3, v8, v3, v1
	s_addc_u32 s19, s19, 0
	v_mov_b64_e32 v[8:9], s[10:11]
	s_add_u32 s20, s20, 8
	v_cmp_ge_u64_e32 vcc, s[22:23], v[8:9]
	s_addc_u32 s21, s21, 0
	s_cbranch_vccnz .LBB0_9
; %bb.7:                                ;   in Loop: Header=BB0_2 Depth=1
	v_mov_b64_e32 v[8:9], v[6:7]
	s_branch .LBB0_2
.LBB0_8:
	v_mov_b64_e32 v[2:3], v[10:11]
	v_mov_b64_e32 v[6:7], v[8:9]
.LBB0_9:
	s_load_dwordx2 s[0:1], s[0:1], 0x28
	s_lshl_b64 s[16:17], s[10:11], 3
	s_add_u32 s2, s14, s16
	s_addc_u32 s3, s15, s17
                                        ; implicit-def: $sgpr14_sgpr15
                                        ; implicit-def: $sgpr18
                                        ; implicit-def: $vgpr5
                                        ; implicit-def: $vgpr58
	s_waitcnt lgkmcnt(0)
	v_cmp_gt_u64_e32 vcc, s[0:1], v[6:7]
	v_cmp_le_u64_e64 s[0:1], s[0:1], v[6:7]
	s_and_saveexec_b64 s[10:11], s[0:1]
	s_xor_b64 s[0:1], exec, s[10:11]
; %bb.10:
	s_mov_b32 s10, 0x5555556
	v_mul_hi_u32 v1, v0, s10
	v_mul_u32_u24_e32 v1, 48, v1
	v_sub_u32_e32 v5, v0, v1
	v_or_b32_e32 v58, 0xc0, v5
	s_mov_b32 s18, 0
	s_mov_b64 s[14:15], 0
                                        ; implicit-def: $vgpr0
                                        ; implicit-def: $vgpr10_vgpr11
; %bb.11:
	s_or_saveexec_b64 s[10:11], s[0:1]
	v_mov_b32_e32 v4, s18
	v_mov_b64_e32 v[8:9], s[14:15]
	v_mov_b64_e32 v[18:19], s[14:15]
	;; [unrolled: 1-line block ×8, first 2 shown]
                                        ; implicit-def: $vgpr31
                                        ; implicit-def: $vgpr33
                                        ; implicit-def: $vgpr20
                                        ; implicit-def: $vgpr12
                                        ; implicit-def: $vgpr36
                                        ; implicit-def: $vgpr38
                                        ; implicit-def: $vgpr1
                                        ; implicit-def: $vgpr45
                                        ; implicit-def: $vgpr43
                                        ; implicit-def: $vgpr35
                                        ; implicit-def: $vgpr40
	s_xor_b64 exec, exec, s[10:11]
	s_cbranch_execz .LBB0_13
; %bb.12:
	s_add_u32 s0, s12, s16
	s_addc_u32 s1, s13, s17
	s_load_dwordx2 s[0:1], s[0:1], 0x0
	s_mov_b32 s12, 0x5555556
	s_waitcnt lgkmcnt(0)
	v_mul_lo_u32 v1, s1, v6
	v_mul_lo_u32 v4, s0, v7
	v_mad_u64_u32 v[8:9], s[0:1], s0, v6, 0
	v_add3_u32 v9, v9, v4, v1
	v_mul_hi_u32 v1, v0, s12
	v_mul_u32_u24_e32 v1, 48, v1
	v_sub_u32_e32 v5, v0, v1
	v_lshl_add_u64 v[0:1], v[8:9], 3, s[4:5]
	v_lshl_add_u64 v[0:1], v[10:11], 3, v[0:1]
	v_lshlrev_b32_e32 v10, 3, v5
	v_mov_b32_e32 v11, 0
	v_lshl_add_u64 v[20:21], v[0:1], 0, v[10:11]
	s_movk_i32 s0, 0x1000
	global_load_dwordx2 v[8:9], v[20:21], off
	global_load_dwordx2 v[24:25], v[20:21], off offset:384
	global_load_dwordx2 v[16:17], v[20:21], off offset:768
	;; [unrolled: 1-line block ×10, first 2 shown]
	v_add_co_u32_e64 v20, s[0:1], s0, v20
	v_or_b32_e32 v10, 0x1200, v10
	s_nop 0
	v_addc_co_u32_e64 v21, s[0:1], 0, v21, s[0:1]
	v_lshl_add_u64 v[0:1], v[0:1], 0, v[10:11]
	global_load_dwordx2 v[34:35], v[20:21], off offset:896
	global_load_dwordx2 v[32:33], v[20:21], off offset:1280
	global_load_dwordx2 v[44:45], v[0:1], off
	global_load_dwordx2 v[38:39], v[20:21], off offset:128
	global_load_dwordx2 v[40:41], v[20:21], off offset:1664
	v_or_b32_e32 v58, 0xc0, v5
	v_mov_b32_e32 v4, v5
	s_waitcnt vmcnt(5)
	v_mov_b32_e32 v21, v30
	s_waitcnt vmcnt(4)
	;; [unrolled: 2-line block ×4, first 2 shown]
	v_mov_b32_e32 v1, v44
.LBB0_13:
	s_or_b64 exec, exec, s[10:11]
	v_sub_f32_e32 v10, v8, v12
	v_sub_f32_e32 v0, v19, v45
	v_add_f32_e32 v44, v24, v24
	s_waitcnt vmcnt(1)
	v_sub_f32_e32 v12, v27, v39
	v_sub_f32_e32 v34, v24, v36
	;; [unrolled: 1-line block ×3, first 2 shown]
	v_mov_b32_e32 v45, v23
	v_add_f32_e32 v11, v8, v8
	v_sub_f32_e32 v8, v26, v38
	v_fma_f32 v38, v25, 2.0, -v39
	v_pk_add_f32 v[24:25], v[44:45], v[34:35] neg_lo:[0,1] neg_hi:[0,1]
	v_sub_f32_e32 v46, v17, v31
	v_sub_f32_e32 v61, v15, v33
	v_add_f32_e32 v48, v23, v23
	s_waitcnt vmcnt(0)
	v_sub_f32_e32 v31, v28, v40
	v_mov_b32_e32 v49, v22
	v_mov_b32_e32 v42, v25
	v_add_f32_e32 v32, v19, v19
	v_fma_f32 v19, v17, 2.0, -v46
	v_fma_f32 v17, v15, 2.0, -v61
	;; [unrolled: 1-line block ×3, first 2 shown]
	v_sub_f32_e32 v33, v29, v41
	v_fma_f32 v26, v28, 2.0, -v31
	v_pk_add_f32 v[40:41], v[48:49], v[42:43] neg_lo:[0,1] neg_hi:[0,1]
	v_sub_f32_e32 v26, v15, v26
	v_fma_f32 v22, v22, 2.0, -v41
	v_mov_b32_e32 v23, v34
	v_fma_f32 v27, v27, 2.0, -v12
	v_fma_f32 v28, v29, 2.0, -v33
	;; [unrolled: 1-line block ×3, first 2 shown]
	v_add_f32_e32 v15, v8, v33
	v_sub_f32_e32 v31, v12, v31
	v_mov_b32_e32 v33, v18
	v_pk_add_f32 v[42:43], v[24:25], v[22:23] neg_lo:[0,1] neg_hi:[0,1]
	v_pk_add_f32 v[22:23], v[24:25], v[22:23]
	v_sub_f32_e32 v28, v27, v28
	v_fma_f32 v8, v8, 2.0, -v15
	v_mul_f32_e32 v29, 0x3f3504f3, v31
	v_pk_add_f32 v[32:33], v[32:33], v[0:1] neg_lo:[0,1] neg_hi:[0,1]
	v_mov_b32_e32 v43, v23
	v_fma_f32 v36, v24, 2.0, -v42
	v_pk_add_f32 v[24:25], v[38:39], v[40:41] neg_lo:[0,1] neg_hi:[0,1]
	v_fma_f32 v1, v34, 2.0, -v23
	v_fmac_f32_e32 v23, 0x3f3504f3, v15
	v_mov_b32_e32 v22, v42
	v_add_f32_e32 v47, v18, v18
	v_fma_f32 v50, v12, 2.0, -v31
	v_fma_f32 v18, v39, 2.0, -v25
	v_fmamk_f32 v37, v8, 0xbf3504f3, v1
	v_pk_add_f32 v[22:23], v[22:23], v[28:29]
	v_fma_f32 v57, v27, 2.0, -v28
	v_fmamk_f32 v12, v50, 0xbf3504f3, v18
	v_fmac_f32_e32 v37, 0x3f3504f3, v50
	v_pk_fma_f32 v[28:29], v[42:43], 2.0, v[22:23] op_sel_hi:[1,0,1] neg_lo:[0,0,1] neg_hi:[0,0,1]
	v_mov_b32_e32 v42, 2.0
	v_mov_b32_e32 v43, v10
	v_mul_f32_e32 v27, 0x3f3504f3, v15
	v_fmac_f32_e32 v12, 0xbf3504f3, v8
	v_fma_f32 v8, v1, 2.0, -v37
	v_pk_add_f32 v[48:49], v[10:11], v[10:11]
	v_pk_add_f32 v[54:55], v[10:11], v[42:43] neg_lo:[0,1] neg_hi:[0,1]
	v_mov_b32_e32 v11, v47
	v_mov_b32_e32 v1, v33
	;; [unrolled: 1-line block ×3, first 2 shown]
	v_fma_f32 v35, v38, 2.0, -v24
	v_fmamk_f32 v39, v31, 0x3f3504f3, v25
	v_mov_b32_e32 v38, v24
	v_pk_add_f32 v[44:45], v[10:11], v[0:1]
	v_pk_add_f32 v[0:1], v[10:11], v[32:33] neg_lo:[0,1] neg_hi:[0,1]
	v_add_f32_e32 v47, v16, v16
	v_pk_add_f32 v[20:21], v[14:15], v[20:21] neg_lo:[0,1] neg_hi:[0,1]
	s_mov_b32 s10, 2.0
	s_mov_b32 s0, 0x3f3504f3
	v_pk_add_f32 v[26:27], v[38:39], v[26:27] neg_lo:[0,1] neg_hi:[0,1]
	s_mov_b32 s1, 0x3f6c835e
	v_mov_b32_e32 v49, v55
	v_mov_b32_e32 v45, v1
	v_fma_f32 v16, v14, 2.0, -v20
	v_pk_add_f32 v[14:15], v[46:47], v[20:21] neg_lo:[0,1] neg_hi:[0,1]
	v_add_f32_e32 v66, v21, v61
	v_pk_mul_f32 v[38:39], v[28:29], s[0:1]
	v_pk_mul_f32 v[42:43], v[26:27], s[0:1]
	v_pk_add_f32 v[0:1], v[48:49], v[44:45] neg_lo:[0,1] neg_hi:[0,1]
	v_add_f32_e32 v10, v44, v44
	v_sub_f32_e32 v45, v15, v16
	v_fma_f32 v16, v21, 2.0, -v66
	v_fma_f32 v20, v46, 2.0, -v14
	s_mov_b32 s1, s10
	v_fmac_f32_e32 v44, 0x3f3504f3, v66
	v_fma_f32 v59, v18, 2.0, -v12
	v_mov_b32_e32 v18, v0
	v_mul_f32_e32 v16, 0x3f3504f3, v16
	v_mul_f32_e32 v48, 0x3f3504f3, v20
	v_pk_fma_f32 v[20:21], v[14:15], s[0:1], v[44:45]
	v_pk_fma_f32 v[46:47], v[14:15], s[0:1], v[44:45] neg_lo:[0,0,1] neg_hi:[0,0,1]
	v_mov_b32_e32 v49, v1
	v_mov_b32_e32 v21, v47
	v_pk_add_f32 v[46:47], v[18:19], v[16:17] neg_lo:[0,1] neg_hi:[0,1]
	v_pk_fma_f32 v[24:25], v[24:25], 2.0, v[26:27] op_sel_hi:[1,0,1] neg_lo:[0,0,1] neg_hi:[0,0,1]
	s_mov_b32 s5, 0x3ec3ef15
	s_mov_b32 s4, s0
	v_pk_add_f32 v[62:63], v[48:49], v[46:47]
	v_mul_f32_e32 v50, 0x3f6c835e, v8
	v_pk_mul_f32 v[40:41], v[24:25], s[4:5]
	v_fma_f32 v11, v55, 2.0, -v1
	v_mov_b32_e32 v51, v38
	v_pk_fma_f32 v[54:55], v[0:1], 2.0, v[62:63] op_sel_hi:[1,0,1] neg_lo:[0,0,1] neg_hi:[0,0,1]
	v_mul_f32_e32 v52, 0x3ec3ef15, v59
	v_mov_b32_e32 v53, v40
	v_pk_add_f32 v[0:1], v[54:55], v[50:51] neg_lo:[0,1] neg_hi:[0,1]
	v_mul_f32_e32 v56, 0x3ec3ef15, v29
	v_pk_add_f32 v[64:65], v[52:53], v[0:1]
	v_fmamk_f32 v0, v23, 0x3f6c835e, v20
	v_fmac_f32_e32 v0, 0x3ec3ef15, v27
	v_pk_add_f32 v[26:27], v[10:11], v[20:21] neg_lo:[0,1] neg_hi:[0,1]
	v_mul_f32_e32 v24, 0x3f6c835e, v25
	v_mov_b32_e32 v34, v26
	v_pk_add_f32 v[56:57], v[34:35], v[56:57] neg_lo:[0,1] neg_hi:[0,1]
	v_mov_b32_e32 v25, v27
	v_add_f32_e32 v10, v20, v20
	v_lshl_add_u32 v17, v5, 6, 0
	v_pk_fma_f32 v[20:21], v[54:55], 2.0, v[64:65] op_sel_hi:[1,0,1] neg_lo:[0,0,1] neg_hi:[0,0,1]
	v_pk_mul_f32 v[52:53], v[22:23], s[4:5]
	v_pk_mul_f32 v[54:55], v[14:15], s[0:1]
	v_pk_add_f32 v[14:15], v[24:25], v[56:57]
	v_mul_f32_e32 v28, 0x3ec3ef15, v37
	ds_write2_b32 v17, v20, v21 offset0:1 offset1:2
	v_pk_fma_f32 v[20:21], v[26:27], 2.0, v[14:15] op_sel_hi:[1,0,1] neg_lo:[0,0,1] neg_hi:[0,0,1]
	v_mov_b32_e32 v29, v52
	v_mul_f32_e32 v60, 0x3f6c835e, v12
	v_mov_b32_e32 v31, 0x3f6c835e
	ds_write2_b32 v17, v20, v21 offset0:3 offset1:4
	v_pk_add_f32 v[20:21], v[62:63], v[28:29]
	v_mov_b32_e32 v61, v42
	v_pk_add_f32 v[50:51], v[36:37], v[30:31] neg_lo:[0,1] neg_hi:[0,1]
	v_pk_add_f32 v[20:21], v[60:61], v[20:21]
	v_fma_f32 v11, v11, 2.0, -v27
	v_fma_f32 v1, v36, 2.0, -v50
	v_pk_fma_f32 v[22:23], v[62:63], 2.0, v[20:21] op_sel_hi:[1,0,1] neg_lo:[0,0,1] neg_hi:[0,0,1]
	ds_write2_b32 v17, v22, v23 offset0:5 offset1:6
	v_pk_add_f32 v[22:23], v[10:11], v[0:1] neg_lo:[0,1] neg_hi:[0,1]
	s_movk_i32 s0, 0xffc4
	v_fma_f32 v1, v11, 2.0, -v23
	s_load_dwordx2 s[2:3], s[2:3], 0x0
	ds_write2_b32 v17, v22, v23 offset0:7 offset1:8
	ds_write2_b32 v17, v64, v65 offset0:9 offset1:10
	;; [unrolled: 1-line block ×4, first 2 shown]
	ds_write2_b32 v17, v1, v0 offset1:15
	v_mad_i32_i24 v1, v5, s0, v17
	v_add_u32_e32 v18, 0x400, v1
	v_add_u32_e32 v22, 0x800, v1
	s_waitcnt lgkmcnt(0)
	; wave barrier
	s_waitcnt lgkmcnt(0)
	ds_read2_b32 v[14:15], v1 offset1:48
	ds_read2_b32 v[28:29], v18 offset1:48
	ds_read2st64_b32 v[20:21], v1 offset0:7 offset1:8
	ds_read2_b32 v[26:27], v22 offset0:48 offset1:96
	ds_read2_b32 v[10:11], v1 offset0:96 offset1:144
	;; [unrolled: 1-line block ×4, first 2 shown]
	v_lshl_add_u32 v46, v58, 2, 0
	ds_read_b32 v55, v46
	v_mul_i32_i24_e32 v1, 0xffffffc4, v5
	v_cmp_gt_u32_e64 s[0:1], 16, v5
	v_add_u32_e32 v44, v17, v1
	v_mul_f32_e32 v49, 0x3f3504f3, v66
                                        ; implicit-def: $vgpr56
	s_and_saveexec_b64 s[4:5], s[0:1]
	s_cbranch_execz .LBB0_15
; %bb.14:
	v_add_u32_e32 v0, 0xc0, v44
	ds_read2st64_b32 v[0:1], v0 offset0:3 offset1:7
	ds_read_b32 v56, v44 offset:3008
.LBB0_15:
	s_or_b64 exec, exec, s[4:5]
	v_sub_f32_e32 v61, v9, v13
	v_fma_f32 v60, v9, 2.0, -v61
	v_mul_f32_e32 v63, 0x3ec3ef15, v8
	v_pk_mul_f32 v[8:9], v[36:37], v[30:31]
	v_pk_add_f32 v[32:33], v[60:61], v[32:33] neg_lo:[0,1] neg_hi:[0,1]
	v_mov_b32_e32 v51, v9
	v_mov_b32_e32 v9, v54
	v_pk_fma_f32 v[60:61], v[60:61], 2.0, v[32:33] op_sel_hi:[1,0,1] neg_lo:[0,0,1] neg_hi:[0,0,1]
	v_pk_add_f32 v[8:9], v[32:33], v[8:9]
	v_sub_f32_e32 v31, v61, v48
	v_mov_b32_e32 v8, v32
	v_mov_b32_e32 v48, v45
	;; [unrolled: 1-line block ×3, first 2 shown]
	v_fma_f32 v62, v35, 2.0, -v57
	v_pk_add_f32 v[34:35], v[8:9], v[48:49] neg_lo:[0,1] neg_hi:[0,1]
	v_fma_f32 v18, v19, 2.0, -v47
	v_mov_b32_e32 v19, v16
	v_pk_fma_f32 v[8:9], v[32:33], 2.0, v[34:35] op_sel_hi:[1,0,1] neg_lo:[0,0,1] neg_hi:[0,0,1]
	v_pk_add_f32 v[18:19], v[30:31], v[18:19] neg_lo:[0,1] neg_hi:[0,1]
	v_pk_add_f32 v[32:33], v[8:9], v[40:41] neg_lo:[0,1] neg_hi:[0,1]
	v_pk_fma_f32 v[30:31], v[60:61], 2.0, v[18:19] op_sel_hi:[1,0,1] neg_lo:[0,0,1] neg_hi:[0,0,1]
	v_pk_add_f32 v[32:33], v[32:33], v[38:39] neg_lo:[0,1] neg_hi:[0,1]
	v_fmamk_f32 v39, v59, 0xbf6c835e, v31
	v_mov_b32_e32 v38, v30
	v_pk_fma_f32 v[36:37], v[8:9], 2.0, v[32:33] op_sel_hi:[1,0,1] neg_lo:[0,0,1] neg_hi:[0,0,1]
	v_pk_add_f32 v[8:9], v[34:35], v[42:43]
	v_pk_add_f32 v[38:39], v[38:39], v[62:63] neg_lo:[0,1] neg_hi:[0,1]
	v_fmamk_f32 v13, v12, 0x3ec3ef15, v19
	v_mov_b32_e32 v12, v18
	v_pk_add_f32 v[8:9], v[8:9], v[52:53] neg_lo:[0,1] neg_hi:[0,1]
	v_pk_fma_f32 v[30:31], v[30:31], 2.0, v[38:39] op_sel_hi:[1,0,1] neg_lo:[0,0,1] neg_hi:[0,0,1]
	v_pk_add_f32 v[12:13], v[12:13], v[50:51] neg_lo:[0,1] neg_hi:[0,1]
	v_pk_fma_f32 v[34:35], v[34:35], 2.0, v[8:9] op_sel_hi:[1,0,1] neg_lo:[0,0,1] neg_hi:[0,0,1]
	v_pk_fma_f32 v[18:19], v[18:19], 2.0, v[12:13] op_sel_hi:[1,0,1] neg_lo:[0,0,1] neg_hi:[0,0,1]
	s_waitcnt lgkmcnt(0)
	; wave barrier
	s_waitcnt lgkmcnt(0)
	ds_write2_b64 v17, v[30:31], v[36:37] offset1:1
	ds_write2_b64 v17, v[18:19], v[34:35] offset0:2 offset1:3
	ds_write2_b64 v17, v[38:39], v[32:33] offset0:4 offset1:5
	;; [unrolled: 1-line block ×3, first 2 shown]
	v_add_u32_e32 v8, 0x400, v44
	v_add_u32_e32 v30, 0x800, v44
	s_waitcnt lgkmcnt(0)
	; wave barrier
	s_waitcnt lgkmcnt(0)
	ds_read2_b32 v[12:13], v44 offset1:48
	ds_read2_b32 v[38:39], v8 offset1:48
	ds_read2st64_b32 v[18:19], v44 offset0:7 offset1:8
	ds_read2_b32 v[36:37], v30 offset0:48 offset1:96
	ds_read2_b32 v[16:17], v44 offset0:96 offset1:144
	;; [unrolled: 1-line block ×4, first 2 shown]
	ds_read_b32 v40, v46
                                        ; implicit-def: $vgpr53
                                        ; implicit-def: $vgpr33
	s_and_saveexec_b64 s[4:5], s[0:1]
	s_cbranch_execz .LBB0_17
; %bb.16:
	v_add_u32_e32 v8, 0xc0, v44
	ds_read2st64_b32 v[32:33], v8 offset0:3 offset1:7
	ds_read_b32 v53, v44 offset:3008
	s_waitcnt lgkmcnt(1)
	v_mov_b32_e32 v9, v32
.LBB0_17:
	s_or_b64 exec, exec, s[4:5]
	v_lshlrev_b32_e32 v8, 4, v5
	v_and_b32_e32 v8, 0xf0, v8
	v_and_b32_e32 v57, 15, v5
	global_load_dwordx2 v[60:61], v8, s[8:9]
	global_load_dwordx2 v[62:63], v8, s[8:9] offset:8
	global_load_dwordx2 v[64:65], v8, s[8:9] offset:4
	global_load_dword v54, v8, s[8:9] offset:12
	v_lshlrev_b32_e32 v8, 4, v57
	global_load_dword v59, v8, s[8:9]
	v_add_u32_e32 v66, 48, v5
	s_waitcnt lgkmcnt(0)
	; wave barrier
	s_waitcnt lgkmcnt(0)
	v_add_u32_e32 v67, 0x60, v5
	v_add_u32_e32 v68, 0x90, v5
	s_waitcnt vmcnt(4)
	v_mul_f32_e32 v51, v38, v61
	s_waitcnt vmcnt(3)
	v_mul_f32_e32 v52, v19, v63
	v_mul_f32_e32 v49, v39, v61
	;; [unrolled: 1-line block ×12, first 2 shown]
	s_waitcnt vmcnt(0)
	v_fmac_f32_e32 v51, v28, v59
	v_fmac_f32_e32 v49, v29, v59
	;; [unrolled: 1-line block ×4, first 2 shown]
	v_mul_f32_e32 v73, v24, v61
	v_mul_f32_e32 v48, v37, v63
	;; [unrolled: 1-line block ×10, first 2 shown]
	v_fma_f32 v54, v38, v59, -v69
	v_fma_f32 v38, v39, v59, -v71
	;; [unrolled: 1-line block ×5, first 2 shown]
	v_fmac_f32_e32 v45, v24, v59
	v_fmac_f32_e32 v42, v25, v59
	;; [unrolled: 1-line block ×4, first 2 shown]
	v_add_f32_e32 v20, v51, v52
	v_add_f32_e32 v26, v49, v50
	v_mul_f32_e32 v64, v1, v64
	v_fmac_f32_e32 v48, v27, v65
	v_fma_f32 v21, v35, v59, -v75
	v_fma_f32 v22, v30, v65, -v76
	v_fmac_f32_e32 v47, v23, v65
	v_fma_f32 v19, v31, v65, -v63
	v_fmac_f32_e32 v32, v1, v60
	v_add_f32_e32 v1, v14, v51
	v_sub_f32_e32 v23, v54, v37
	v_add_f32_e32 v25, v15, v49
	v_sub_f32_e32 v30, v38, v36
	v_add_f32_e32 v31, v10, v45
	v_add_f32_e32 v39, v42, v43
	v_fma_f32 v14, -0.5, v20, v14
	v_fmac_f32_e32 v15, -0.5, v26
	v_fma_f32 v28, v53, v62, -v77
	v_add_f32_e32 v35, v11, v42
	v_sub_f32_e32 v53, v21, v22
	v_add_f32_e32 v20, v25, v50
	v_add_f32_e32 v25, v31, v48
	v_fmac_f32_e32 v11, -0.5, v39
	v_fmamk_f32 v31, v23, 0xbf5db3d7, v14
	v_fmac_f32_e32 v14, 0x3f5db3d7, v23
	v_fmamk_f32 v23, v30, 0xbf5db3d7, v15
	v_fmac_f32_e32 v15, 0x3f5db3d7, v30
	v_add_f32_e32 v30, v55, v8
	v_fma_f32 v18, v18, v59, -v61
	v_fmamk_f32 v39, v53, 0xbf5db3d7, v11
	v_fmac_f32_e32 v11, 0x3f5db3d7, v53
	v_add_f32_e32 v53, v30, v47
	v_add_f32_e32 v30, v8, v47
	v_fmac_f32_e32 v55, -0.5, v30
	v_sub_f32_e32 v30, v18, v19
	v_fmac_f32_e32 v41, v56, v62
	v_fmamk_f32 v56, v30, 0xbf5db3d7, v55
	v_fmac_f32_e32 v55, 0x3f5db3d7, v30
	v_lshrrev_b32_e32 v30, 4, v5
	v_mul_u32_u24_e32 v30, 48, v30
	v_or_b32_e32 v30, v30, v57
	v_add_f32_e32 v1, v1, v52
	v_lshl_add_u32 v30, v30, 2, 0
	ds_write2_b32 v30, v1, v31 offset1:16
	ds_write_b32 v30, v14 offset:128
	v_lshrrev_b32_e32 v1, 4, v66
	v_mul_u32_u24_e32 v1, 48, v1
	v_or_b32_e32 v1, v1, v57
	v_lshl_add_u32 v31, v1, 2, 0
	v_lshrrev_b32_e32 v1, 4, v67
	v_mul_u32_u24_e32 v1, 48, v1
	v_fma_f32 v27, v33, v60, -v64
	v_add_f32_e32 v33, v45, v48
	v_or_b32_e32 v1, v1, v57
	v_fma_f32 v10, -0.5, v33, v10
	v_lshl_add_u32 v33, v1, 2, 0
	v_lshrrev_b32_e32 v1, 4, v68
	v_fma_f32 v24, v34, v59, -v73
	v_mul_u32_u24_e32 v1, 48, v1
	v_sub_f32_e32 v34, v24, v29
	v_or_b32_e32 v1, v1, v57
	v_add_f32_e32 v26, v35, v43
	v_fmamk_f32 v35, v34, 0xbf5db3d7, v10
	v_fmac_f32_e32 v10, 0x3f5db3d7, v34
	v_lshl_add_u32 v34, v1, 2, 0
	v_lshrrev_b32_e32 v1, 4, v58
	v_mul_lo_u32 v1, v1, 48
	v_or_b32_e32 v1, v1, v57
	ds_write2_b32 v31, v20, v23 offset1:16
	ds_write_b32 v31, v15 offset:128
	ds_write2_b32 v33, v25, v35 offset1:16
	ds_write_b32 v33, v10 offset:128
	;; [unrolled: 2-line block ×3, first 2 shown]
	v_lshl_add_u32 v35, v1, 2, 0
	v_lshl_add_u32 v26, v5, 2, 0
	ds_write2_b32 v35, v53, v56 offset1:16
	ds_write_b32 v35, v55 offset:128
	s_and_saveexec_b64 s[4:5], s[0:1]
	s_cbranch_execz .LBB0_19
; %bb.18:
	v_add_f32_e32 v1, v32, v41
	v_fma_f32 v1, -0.5, v1, v0
	v_sub_f32_e32 v10, v27, v28
	v_add_f32_e32 v0, v0, v32
	v_fmamk_f32 v11, v10, 0x3f5db3d7, v1
	v_fmac_f32_e32 v1, 0xbf5db3d7, v10
	v_add_f32_e32 v0, v0, v41
	v_add_u32_e32 v10, 0x800, v26
	ds_write2_b32 v10, v0, v1 offset0:208 offset1:224
	ds_write_b32 v26, v11 offset:3008
.LBB0_19:
	s_or_b64 exec, exec, s[4:5]
	v_add_f32_e32 v0, v12, v54
	v_add_f32_e32 v39, v0, v37
	;; [unrolled: 1-line block ×3, first 2 shown]
	v_fma_f32 v37, -0.5, v0, v12
	v_sub_f32_e32 v0, v51, v52
	v_fmamk_f32 v51, v0, 0x3f5db3d7, v37
	v_fmac_f32_e32 v37, 0xbf5db3d7, v0
	v_add_f32_e32 v0, v13, v38
	v_add_f32_e32 v52, v0, v36
	;; [unrolled: 1-line block ×3, first 2 shown]
	v_fmac_f32_e32 v13, -0.5, v0
	v_sub_f32_e32 v0, v49, v50
	v_fmamk_f32 v36, v0, 0x3f5db3d7, v13
	v_fmac_f32_e32 v13, 0xbf5db3d7, v0
	v_add_f32_e32 v0, v16, v24
	v_add_f32_e32 v38, v0, v29
	;; [unrolled: 1-line block ×3, first 2 shown]
	v_fma_f32 v16, -0.5, v0, v16
	v_sub_f32_e32 v0, v45, v48
	v_fmamk_f32 v29, v0, 0x3f5db3d7, v16
	v_fmac_f32_e32 v16, 0xbf5db3d7, v0
	v_add_f32_e32 v0, v17, v21
	v_add_f32_e32 v45, v0, v22
	;; [unrolled: 1-line block ×3, first 2 shown]
	v_fmac_f32_e32 v17, -0.5, v0
	v_sub_f32_e32 v0, v42, v43
	v_fmamk_f32 v42, v0, 0x3f5db3d7, v17
	v_fmac_f32_e32 v17, 0xbf5db3d7, v0
	v_add_f32_e32 v0, v40, v18
	v_add_f32_e32 v43, v0, v19
	;; [unrolled: 1-line block ×3, first 2 shown]
	v_fmac_f32_e32 v40, -0.5, v0
	v_sub_f32_e32 v0, v8, v47
	v_fmamk_f32 v47, v0, 0x3f5db3d7, v40
	v_fmac_f32_e32 v40, 0xbf5db3d7, v0
	s_waitcnt lgkmcnt(0)
	; wave barrier
	s_waitcnt lgkmcnt(0)
	ds_read2_b32 v[0:1], v44 offset1:48
	ds_read2_b32 v[20:21], v44 offset0:96 offset1:144
	ds_read_b32 v12, v46
	ds_read_b32 v8, v26 offset:960
	v_add_u32_e32 v10, 0x400, v44
	v_add_u32_e32 v14, 0x600, v44
	v_add_u32_e32 v24, 0x800, v44
	ds_read2_b32 v[22:23], v10 offset0:32 offset1:80
	ds_read2_b32 v[10:11], v10 offset0:128 offset1:176
	;; [unrolled: 1-line block ×5, first 2 shown]
	s_waitcnt lgkmcnt(0)
	; wave barrier
	s_waitcnt lgkmcnt(0)
	ds_write2_b32 v30, v39, v51 offset1:16
	ds_write_b32 v30, v37 offset:128
	ds_write2_b32 v31, v52, v36 offset1:16
	ds_write_b32 v31, v13 offset:128
	;; [unrolled: 2-line block ×5, first 2 shown]
	s_and_saveexec_b64 s[4:5], s[0:1]
	s_cbranch_execz .LBB0_21
; %bb.20:
	v_add_f32_e32 v16, v27, v28
	v_add_f32_e32 v13, v9, v27
	v_fmac_f32_e32 v9, -0.5, v16
	v_sub_f32_e32 v16, v32, v41
	v_add_f32_e32 v13, v13, v28
	v_fmamk_f32 v17, v16, 0x3f5db3d7, v9
	v_fmamk_f32 v9, v16, 0xbf5db3d7, v9
	v_add_u32_e32 v16, 0x800, v26
	ds_write2_b32 v16, v13, v17 offset0:208 offset1:224
	ds_write_b32 v26, v9 offset:3008
.LBB0_21:
	s_or_b64 exec, exec, s[4:5]
	s_waitcnt lgkmcnt(0)
	; wave barrier
	s_waitcnt lgkmcnt(0)
	s_and_saveexec_b64 s[0:1], vcc
	s_cbranch_execz .LBB0_23
; %bb.22:
	v_mul_u32_u24_e32 v5, 15, v5
	v_lshlrev_b32_e32 v5, 3, v5
	global_load_dwordx4 v[28:31], v5, s[8:9] offset:272
	global_load_dwordx4 v[32:35], v5, s[8:9] offset:304
	global_load_dwordx2 v[16:17], v5, s[8:9] offset:368
	global_load_dwordx4 v[36:39], v5, s[8:9] offset:288
	global_load_dwordx4 v[40:43], v5, s[8:9] offset:352
	;; [unrolled: 1-line block ×5, first 2 shown]
	ds_read_b32 v46, v46
	ds_read2_b32 v[60:61], v44 offset0:96 offset1:144
	v_add_u32_e32 v5, 0x400, v44
	v_add_u32_e32 v27, 0x800, v44
	v_mov_b32_e32 v68, v21
	v_mov_b32_e32 v70, v21
	ds_read2_b32 v[72:73], v5 offset0:32 offset1:80
	ds_read2_b32 v[74:75], v5 offset0:128 offset1:176
	v_mov_b32_e32 v62, v23
	v_mov_b32_e32 v64, v23
	;; [unrolled: 1-line block ×3, first 2 shown]
	v_mul_lo_u32 v9, s3, v6
	v_mov_b32_e32 v5, 0
	s_mov_b32 s4, 0x3f6c835e
	s_waitcnt vmcnt(7) lgkmcnt(3)
	v_pk_mul_f32 v[46:47], v[46:47], v[30:31] op_sel_hi:[0,1]
	v_pk_fma_f32 v[76:77], v[12:13], v[30:31], v[46:47] op_sel:[0,0,1] op_sel_hi:[1,1,0]
	v_pk_fma_f32 v[12:13], v[12:13], v[30:31], v[46:47] op_sel:[0,0,1] op_sel_hi:[0,1,0] neg_lo:[1,0,0] neg_hi:[1,0,0]
	s_waitcnt lgkmcnt(2)
	v_mov_b32_e32 v12, v61
	v_pk_mul_f32 v[30:31], v[12:13], v[28:29] op_sel_hi:[0,1]
	v_pk_fma_f32 v[46:47], v[68:69], v[28:29], v[30:31] op_sel:[0,0,1] op_sel_hi:[1,1,0]
	v_pk_fma_f32 v[28:29], v[70:71], v[28:29], v[30:31] op_sel:[0,0,1] op_sel_hi:[0,1,0] neg_lo:[1,0,0] neg_hi:[1,0,0]
	ds_read2_b32 v[30:31], v27 offset0:160 offset1:208
	s_waitcnt lgkmcnt(2)
	v_mov_b32_e32 v12, v73
	s_waitcnt vmcnt(6) lgkmcnt(1)
	v_pk_mul_f32 v[68:69], v[74:75], v[34:35] op_sel_hi:[0,1]
	v_pk_mul_f32 v[70:71], v[12:13], v[32:33] op_sel_hi:[0,1]
	v_pk_fma_f32 v[62:63], v[62:63], v[32:33], v[70:71] op_sel:[0,0,1] op_sel_hi:[1,1,0]
	s_waitcnt lgkmcnt(0)
	v_mov_b32_e32 v12, v31
	v_pk_fma_f32 v[32:33], v[64:65], v[32:33], v[70:71] op_sel:[0,0,1] op_sel_hi:[0,1,0] neg_lo:[1,0,0] neg_hi:[1,0,0]
	v_pk_fma_f32 v[64:65], v[10:11], v[34:35], v[68:69] op_sel:[0,0,1] op_sel_hi:[1,1,0]
	v_pk_fma_f32 v[34:35], v[10:11], v[34:35], v[68:69] op_sel:[0,0,1] op_sel_hi:[0,1,0] neg_lo:[1,0,0] neg_hi:[1,0,0]
	v_mov_b32_e32 v10, v25
	s_waitcnt vmcnt(5)
	v_pk_mul_f32 v[68:69], v[12:13], v[16:17] op_sel_hi:[0,1]
	v_pk_fma_f32 v[66:67], v[66:67], v[16:17], v[68:69] op_sel:[0,0,1] op_sel_hi:[1,1,0]
	v_pk_fma_f32 v[16:17], v[10:11], v[16:17], v[68:69] op_sel:[0,0,1] op_sel_hi:[0,1,0] neg_lo:[1,0,0] neg_hi:[1,0,0]
	v_mul_lo_u32 v12, s2, v7
	v_mad_u64_u32 v[6:7], s[0:1], s2, v6, 0
	v_add_u32_e32 v16, 0x600, v44
	ds_read2_b32 v[44:45], v44 offset1:48
	ds_read_b32 v10, v26 offset:960
	v_add3_u32 v7, v7, v12, v9
	ds_read2_b32 v[68:69], v16 offset0:96 offset1:144
	ds_read2_b32 v[70:71], v27 offset0:64 offset1:112
	v_lshl_add_u64 v[6:7], v[6:7], 3, s[6:7]
	v_lshl_add_u64 v[2:3], v[2:3], 3, v[6:7]
	s_waitcnt vmcnt(4)
	v_pk_mul_f32 v[6:7], v[72:73], v[38:39] op_sel_hi:[0,1]
	s_waitcnt vmcnt(3)
	v_pk_mul_f32 v[30:31], v[30:31], v[42:43] op_sel_hi:[0,1]
	;; [unrolled: 2-line block ×3, first 2 shown]
	v_pk_fma_f32 v[72:73], v[22:23], v[38:39], v[6:7] op_sel:[0,0,1] op_sel_hi:[1,1,0]
	v_pk_fma_f32 v[6:7], v[22:23], v[38:39], v[6:7] op_sel:[0,0,1] op_sel_hi:[0,1,0] neg_lo:[1,0,0] neg_hi:[1,0,0]
	v_pk_fma_f32 v[22:23], v[24:25], v[42:43], v[30:31] op_sel:[0,0,1] op_sel_hi:[1,1,0]
	v_pk_fma_f32 v[24:25], v[24:25], v[42:43], v[30:31] op_sel:[0,0,1] op_sel_hi:[0,1,0] neg_lo:[1,0,0] neg_hi:[1,0,0]
	;; [unrolled: 2-line block ×3, first 2 shown]
	v_mov_b32_e32 v73, v7
	s_waitcnt vmcnt(1) lgkmcnt(1)
	v_pk_mul_f32 v[6:7], v[68:69], v[54:55] op_sel_hi:[0,1]
	v_mov_b32_e32 v23, v25
	s_waitcnt vmcnt(0) lgkmcnt(0)
	v_pk_mul_f32 v[24:25], v[70:71], v[58:59] op_sel_hi:[0,1]
	v_mov_b32_e32 v31, v21
	v_pk_fma_f32 v[20:21], v[18:19], v[54:55], v[6:7] op_sel:[0,0,1] op_sel_hi:[1,1,0]
	v_pk_fma_f32 v[6:7], v[18:19], v[54:55], v[6:7] op_sel:[0,0,1] op_sel_hi:[0,1,0] neg_lo:[1,0,0] neg_hi:[1,0,0]
	v_mov_b32_e32 v26, v0
	v_mov_b32_e32 v21, v7
	v_pk_fma_f32 v[6:7], v[14:15], v[58:59], v[24:25] op_sel:[0,0,1] op_sel_hi:[1,1,0]
	v_pk_fma_f32 v[24:25], v[14:15], v[58:59], v[24:25] op_sel:[0,0,1] op_sel_hi:[0,1,0] neg_lo:[1,0,0] neg_hi:[1,0,0]
	v_mov_b32_e32 v0, v69
	v_mov_b32_e32 v7, v25
	v_pk_mul_f32 v[24:25], v[0:1], v[56:57] op_sel_hi:[0,1]
	v_mov_b32_e32 v0, v19
	v_mov_b32_e32 v47, v29
	v_pk_fma_f32 v[28:29], v[0:1], v[56:57], v[24:25] op_sel:[0,0,1] op_sel_hi:[1,1,0]
	v_pk_fma_f32 v[18:19], v[0:1], v[56:57], v[24:25] op_sel:[0,0,1] op_sel_hi:[0,1,0] neg_lo:[1,0,0] neg_hi:[1,0,0]
	v_mov_b32_e32 v29, v19
	v_pk_mul_f32 v[24:25], v[10:11], v[36:37] op_sel_hi:[0,1]
	v_pk_add_f32 v[18:19], v[46:47], v[28:29] neg_lo:[0,1] neg_hi:[0,1]
	v_pk_fma_f32 v[28:29], v[8:9], v[36:37], v[24:25] op_sel:[0,0,1] op_sel_hi:[1,1,0]
	v_pk_fma_f32 v[8:9], v[8:9], v[36:37], v[24:25] op_sel:[0,0,1] op_sel_hi:[0,1,0] neg_lo:[1,0,0] neg_hi:[1,0,0]
	v_mov_b32_e32 v0, v71
	v_mov_b32_e32 v29, v9
	v_pk_mul_f32 v[8:9], v[0:1], v[40:41] op_sel_hi:[0,1]
	v_mov_b32_e32 v0, v15
	v_pk_fma_f32 v[24:25], v[0:1], v[40:41], v[8:9] op_sel:[0,0,1] op_sel_hi:[1,1,0]
	v_pk_fma_f32 v[8:9], v[0:1], v[40:41], v[8:9] op_sel:[0,0,1] op_sel_hi:[0,1,0] neg_lo:[1,0,0] neg_hi:[1,0,0]
	v_mov_b32_e32 v0, v45
	v_mov_b32_e32 v25, v9
	v_pk_mul_f32 v[14:15], v[0:1], v[48:49] op_sel_hi:[0,1]
	v_mov_b32_e32 v0, v1
	v_pk_add_f32 v[8:9], v[28:29], v[24:25] neg_lo:[0,1] neg_hi:[0,1]
	v_pk_fma_f32 v[24:25], v[0:1], v[48:49], v[14:15] op_sel:[0,0,1] op_sel_hi:[1,1,0]
	v_pk_fma_f32 v[0:1], v[0:1], v[48:49], v[14:15] op_sel:[0,0,1] op_sel_hi:[0,1,0] neg_lo:[1,0,0] neg_hi:[1,0,0]
	v_mov_b32_e32 v0, v75
	v_mov_b32_e32 v25, v1
	v_pk_mul_f32 v[0:1], v[0:1], v[52:53] op_sel_hi:[0,1]
	v_mov_b32_e32 v10, v11
	v_pk_fma_f32 v[14:15], v[10:11], v[52:53], v[0:1] op_sel:[0,0,1] op_sel_hi:[1,1,0]
	v_pk_fma_f32 v[0:1], v[10:11], v[52:53], v[0:1] op_sel:[0,0,1] op_sel_hi:[0,1,0] neg_lo:[1,0,0] neg_hi:[1,0,0]
	v_mov_b32_e32 v27, v44
	v_mov_b32_e32 v77, v13
	;; [unrolled: 1-line block ×6, first 2 shown]
	v_pk_add_f32 v[12:13], v[72:73], v[22:23] neg_lo:[0,1] neg_hi:[0,1]
	v_pk_add_f32 v[16:17], v[30:31], v[20:21] neg_lo:[0,1] neg_hi:[0,1]
	;; [unrolled: 1-line block ×6, first 2 shown]
	v_pk_fma_f32 v[10:11], v[30:31], 2.0, v[16:17] op_sel_hi:[1,0,1] neg_lo:[0,0,1] neg_hi:[0,0,1]
	v_pk_fma_f32 v[14:15], v[72:73], 2.0, v[12:13] op_sel_hi:[1,0,1] neg_lo:[0,0,1] neg_hi:[0,0,1]
	;; [unrolled: 1-line block ×8, first 2 shown]
	v_pk_add_f32 v[14:15], v[10:11], v[14:15] neg_lo:[0,1] neg_hi:[0,1]
	v_pk_add_f32 v[30:31], v[26:27], v[30:31] neg_lo:[0,1] neg_hi:[0,1]
	;; [unrolled: 1-line block ×4, first 2 shown]
	v_pk_fma_f32 v[26:27], v[26:27], 2.0, v[30:31] op_sel_hi:[1,0,1] neg_lo:[0,0,1] neg_hi:[0,0,1]
	v_pk_fma_f32 v[10:11], v[10:11], 2.0, v[14:15] op_sel_hi:[1,0,1] neg_lo:[0,0,1] neg_hi:[0,0,1]
	;; [unrolled: 1-line block ×4, first 2 shown]
	v_pk_add_f32 v[10:11], v[26:27], v[10:11] neg_lo:[0,1] neg_hi:[0,1]
	v_pk_add_f32 v[32:33], v[24:25], v[32:33] neg_lo:[0,1] neg_hi:[0,1]
	v_pk_fma_f32 v[26:27], v[26:27], 2.0, v[10:11] op_sel_hi:[1,0,1] neg_lo:[0,0,1] neg_hi:[0,0,1]
	v_pk_fma_f32 v[24:25], v[24:25], 2.0, v[32:33] op_sel_hi:[1,0,1] neg_lo:[0,0,1] neg_hi:[0,0,1]
	v_lshl_add_u64 v[38:39], v[4:5], 3, v[2:3]
	v_pk_add_f32 v[24:25], v[26:27], v[24:25] neg_lo:[0,1] neg_hi:[0,1]
	s_mov_b32 s0, 0x3f3504f3
	v_pk_fma_f32 v[26:27], v[26:27], 2.0, v[24:25] op_sel_hi:[1,0,1] neg_lo:[0,0,1] neg_hi:[0,0,1]
	global_store_dwordx2 v[38:39], v[26:27], off
	v_pk_add_f32 v[26:27], v[16:17], v[12:13] op_sel:[0,1] op_sel_hi:[1,0]
	v_pk_add_f32 v[12:13], v[16:17], v[12:13] op_sel:[0,1] op_sel_hi:[1,0] neg_lo:[0,1] neg_hi:[0,1]
	s_mov_b32 s2, 0x3ec3ef15
	v_mov_b32_e32 v27, v13
	v_pk_add_f32 v[12:13], v[20:21], v[6:7] op_sel:[0,1] op_sel_hi:[1,0]
	v_pk_add_f32 v[6:7], v[20:21], v[6:7] op_sel:[0,1] op_sel_hi:[1,0] neg_lo:[0,1] neg_hi:[0,1]
	v_or_b32_e32 v4, 0x240, v4
	v_mov_b32_e32 v13, v7
	v_pk_add_f32 v[6:7], v[18:19], v[22:23] op_sel:[0,1] op_sel_hi:[1,0]
	v_pk_add_f32 v[22:23], v[18:19], v[22:23] op_sel:[0,1] op_sel_hi:[1,0] neg_lo:[0,1] neg_hi:[0,1]
	v_pk_fma_f32 v[20:21], v[20:21], 2.0, v[12:13] op_sel_hi:[1,0,1] neg_lo:[0,0,1] neg_hi:[0,0,1]
	v_mov_b32_e32 v7, v23
	v_pk_add_f32 v[22:23], v[0:1], v[8:9] op_sel:[0,1] op_sel_hi:[1,0]
	v_pk_add_f32 v[8:9], v[0:1], v[8:9] op_sel:[0,1] op_sel_hi:[1,0] neg_lo:[0,1] neg_hi:[0,1]
	v_lshl_add_u64 v[2:3], v[4:5], 3, v[2:3]
	v_mov_b32_e32 v23, v9
	v_pk_fma_f32 v[8:9], v[16:17], 2.0, v[26:27] op_sel_hi:[1,0,1] neg_lo:[0,0,1] neg_hi:[0,0,1]
	v_pk_fma_f32 v[0:1], v[0:1], 2.0, v[22:23] op_sel_hi:[1,0,1] neg_lo:[0,0,1] neg_hi:[0,0,1]
	v_pk_mul_f32 v[16:17], v[8:9], s[0:1] op_sel_hi:[1,0]
	v_pk_fma_f32 v[8:9], v[8:9], s[0:1], v[20:21] op_sel_hi:[1,0,1] neg_lo:[1,0,0] neg_hi:[1,0,0]
	s_nop 0
	v_pk_add_f32 v[36:37], v[8:9], v[16:17] op_sel:[0,1] op_sel_hi:[1,0]
	v_pk_add_f32 v[8:9], v[8:9], v[16:17] op_sel:[0,1] op_sel_hi:[1,0] neg_lo:[0,1] neg_hi:[0,1]
	v_pk_fma_f32 v[16:17], v[18:19], 2.0, v[6:7] op_sel_hi:[1,0,1] neg_lo:[0,0,1] neg_hi:[0,0,1]
	v_mov_b32_e32 v37, v9
	v_pk_mul_f32 v[18:19], v[16:17], s[0:1] op_sel_hi:[1,0]
	v_pk_fma_f32 v[16:17], v[16:17], s[0:1], v[0:1] op_sel_hi:[1,0,1] neg_lo:[1,0,0] neg_hi:[1,0,0]
	s_nop 0
	v_pk_add_f32 v[40:41], v[16:17], v[18:19] op_sel:[0,1] op_sel_hi:[1,0]
	v_pk_add_f32 v[16:17], v[16:17], v[18:19] op_sel:[0,1] op_sel_hi:[1,0] neg_lo:[0,1] neg_hi:[0,1]
	v_fmamk_f32 v18, v40, 0x3ec3ef15, v36
	v_mov_b32_e32 v41, v17
	v_fmamk_f32 v8, v17, 0x3ec3ef15, v9
	v_fmac_f32_e32 v18, 0x3f6c835e, v17
	v_pk_fma_f32 v[0:1], v[0:1], 2.0, v[40:41] op_sel_hi:[1,0,1] neg_lo:[0,0,1] neg_hi:[0,0,1]
	v_pk_fma_f32 v[16:17], v[20:21], 2.0, v[36:37] op_sel_hi:[1,0,1] neg_lo:[0,0,1] neg_hi:[0,0,1]
	v_pk_mul_f32 v[20:21], v[0:1], s[2:3] op_sel_hi:[1,0]
	v_pk_fma_f32 v[0:1], v[0:1], s[4:5], v[16:17] op_sel_hi:[1,0,1] neg_lo:[1,0,0] neg_hi:[1,0,0]
	v_fmamk_f32 v19, v40, 0xbf6c835e, v8
	v_fma_f32 v8, v36, 2.0, -v18
	v_pk_add_f32 v[36:37], v[0:1], v[20:21] op_sel:[0,1] op_sel_hi:[1,0]
	v_pk_add_f32 v[0:1], v[0:1], v[20:21] op_sel:[0,1] op_sel_hi:[1,0] neg_lo:[0,1] neg_hi:[0,1]
	v_fma_f32 v9, v9, 2.0, -v19
	v_mov_b32_e32 v37, v1
	v_pk_fma_f32 v[0:1], v[16:17], 2.0, v[36:37] op_sel_hi:[1,0,1] neg_lo:[0,0,1] neg_hi:[0,0,1]
	global_store_dwordx2 v[38:39], v[0:1], off offset:384
	v_pk_add_f32 v[0:1], v[30:31], v[14:15] op_sel:[0,1] op_sel_hi:[1,0]
	v_pk_add_f32 v[14:15], v[30:31], v[14:15] op_sel:[0,1] op_sel_hi:[1,0] neg_lo:[0,1] neg_hi:[0,1]
	v_pk_add_f32 v[16:17], v[28:29], v[34:35] op_sel:[0,1] op_sel_hi:[1,0] neg_lo:[0,1] neg_hi:[0,1]
	v_mov_b32_e32 v1, v15
	v_pk_add_f32 v[14:15], v[28:29], v[34:35] op_sel:[0,1] op_sel_hi:[1,0]
	s_nop 0
	v_mov_b32_e32 v15, v17
	v_pk_fma_f32 v[16:17], v[28:29], 2.0, v[14:15] op_sel_hi:[1,0,1] neg_lo:[0,0,1] neg_hi:[0,0,1]
	v_pk_fma_f32 v[28:29], v[30:31], 2.0, v[0:1] op_sel_hi:[1,0,1] neg_lo:[0,0,1] neg_hi:[0,0,1]
	v_pk_mul_f32 v[20:21], v[16:17], s[0:1] op_sel_hi:[1,0]
	v_pk_fma_f32 v[16:17], v[16:17], s[0:1], v[28:29] op_sel_hi:[1,0,1] neg_lo:[1,0,0] neg_hi:[1,0,0]
	s_nop 0
	v_pk_add_f32 v[30:31], v[16:17], v[20:21] op_sel:[0,1] op_sel_hi:[1,0]
	v_pk_add_f32 v[16:17], v[16:17], v[20:21] op_sel:[0,1] op_sel_hi:[1,0] neg_lo:[0,1] neg_hi:[0,1]
	v_pk_fma_f32 v[20:21], v[26:27], s[0:1], v[12:13] op_sel_hi:[1,0,1]
	v_mov_b32_e32 v31, v17
	v_pk_fma_f32 v[16:17], v[28:29], 2.0, v[30:31] op_sel_hi:[1,0,1] neg_lo:[0,0,1] neg_hi:[0,0,1]
	global_store_dwordx2 v[38:39], v[16:17], off offset:768
	v_pk_mul_f32 v[16:17], v[26:27], s[0:1] op_sel_hi:[1,0]
	s_nop 0
	v_pk_add_f32 v[26:27], v[20:21], v[16:17] op_sel:[0,1] op_sel_hi:[1,0]
	v_pk_add_f32 v[16:17], v[20:21], v[16:17] op_sel:[0,1] op_sel_hi:[1,0] neg_lo:[0,1] neg_hi:[0,1]
	v_pk_mul_f32 v[20:21], v[6:7], s[0:1] op_sel_hi:[1,0]
	v_pk_fma_f32 v[6:7], v[6:7], s[0:1], v[22:23] op_sel_hi:[1,0,1]
	v_mov_b32_e32 v27, v17
	v_pk_add_f32 v[28:29], v[6:7], v[20:21] op_sel:[0,1] op_sel_hi:[1,0]
	v_pk_add_f32 v[6:7], v[6:7], v[20:21] op_sel:[0,1] op_sel_hi:[1,0] neg_lo:[0,1] neg_hi:[0,1]
	v_fmamk_f32 v20, v28, 0x3f6c835e, v26
	v_mov_b32_e32 v29, v7
	v_fmamk_f32 v6, v7, 0x3f6c835e, v17
	v_fmamk_f32 v21, v28, 0xbec3ef15, v6
	v_fmac_f32_e32 v20, 0x3ec3ef15, v7
	v_pk_fma_f32 v[6:7], v[22:23], 2.0, v[28:29] op_sel_hi:[1,0,1] neg_lo:[0,0,1] neg_hi:[0,0,1]
	v_pk_fma_f32 v[12:13], v[12:13], 2.0, v[26:27] op_sel_hi:[1,0,1] neg_lo:[0,0,1] neg_hi:[0,0,1]
	v_pk_mul_f32 v[22:23], v[6:7], s[4:5] op_sel_hi:[1,0]
	v_pk_fma_f32 v[6:7], v[6:7], s[2:3], v[12:13] op_sel_hi:[1,0,1] neg_lo:[1,0,0] neg_hi:[1,0,0]
	v_fma_f32 v16, v26, 2.0, -v20
	v_pk_add_f32 v[26:27], v[6:7], v[22:23] op_sel:[0,1] op_sel_hi:[1,0]
	v_pk_add_f32 v[6:7], v[6:7], v[22:23] op_sel:[0,1] op_sel_hi:[1,0] neg_lo:[0,1] neg_hi:[0,1]
	v_fma_f32 v17, v17, 2.0, -v21
	v_mov_b32_e32 v27, v7
	v_pk_fma_f32 v[6:7], v[12:13], 2.0, v[26:27] op_sel_hi:[1,0,1] neg_lo:[0,0,1] neg_hi:[0,0,1]
	global_store_dwordx2 v[38:39], v[6:7], off offset:1152
	v_pk_add_f32 v[6:7], v[10:11], v[32:33] op_sel:[0,1] op_sel_hi:[1,0]
	v_pk_add_f32 v[12:13], v[10:11], v[32:33] op_sel:[0,1] op_sel_hi:[1,0] neg_lo:[0,1] neg_hi:[0,1]
	s_nop 0
	v_mov_b32_e32 v7, v13
	v_pk_fma_f32 v[10:11], v[10:11], 2.0, v[6:7] op_sel_hi:[1,0,1] neg_lo:[0,0,1] neg_hi:[0,0,1]
	global_store_dwordx2 v[38:39], v[10:11], off offset:1536
	global_store_dwordx2 v[38:39], v[8:9], off offset:1920
	v_pk_mul_f32 v[8:9], v[14:15], s[0:1] op_sel_hi:[1,0]
	v_pk_fma_f32 v[10:11], v[14:15], s[0:1], v[0:1] op_sel_hi:[1,0,1]
	s_movk_i32 s0, 0x1000
	v_pk_add_f32 v[12:13], v[10:11], v[8:9] op_sel:[0,1] op_sel_hi:[1,0]
	v_pk_add_f32 v[8:9], v[10:11], v[8:9] op_sel:[0,1] op_sel_hi:[1,0] neg_lo:[0,1] neg_hi:[0,1]
	s_nop 0
	v_mov_b32_e32 v13, v9
	v_pk_fma_f32 v[0:1], v[0:1], 2.0, v[12:13] op_sel_hi:[1,0,1] neg_lo:[0,0,1] neg_hi:[0,0,1]
	global_store_dwordx2 v[38:39], v[0:1], off offset:2304
	global_store_dwordx2 v[38:39], v[16:17], off offset:2688
	;; [unrolled: 1-line block ×5, first 2 shown]
	v_add_co_u32_e32 v0, vcc, s0, v38
	s_nop 1
	v_addc_co_u32_e32 v1, vcc, 0, v39, vcc
	global_store_dwordx2 v[0:1], v[26:27], off offset:128
	global_store_dwordx2 v[2:3], v[6:7], off
	global_store_dwordx2 v[0:1], v[18:19], off offset:896
	global_store_dwordx2 v[0:1], v[12:13], off offset:1280
	;; [unrolled: 1-line block ×3, first 2 shown]
.LBB0_23:
	s_endpgm
	.section	.rodata,"a",@progbits
	.p2align	6, 0x0
	.amdhsa_kernel fft_rtc_back_len768_factors_16_3_16_wgs_48_tpt_48_halfLds_sp_op_CI_CI_unitstride_sbrr_dirReg
		.amdhsa_group_segment_fixed_size 0
		.amdhsa_private_segment_fixed_size 0
		.amdhsa_kernarg_size 104
		.amdhsa_user_sgpr_count 2
		.amdhsa_user_sgpr_dispatch_ptr 0
		.amdhsa_user_sgpr_queue_ptr 0
		.amdhsa_user_sgpr_kernarg_segment_ptr 1
		.amdhsa_user_sgpr_dispatch_id 0
		.amdhsa_user_sgpr_kernarg_preload_length 0
		.amdhsa_user_sgpr_kernarg_preload_offset 0
		.amdhsa_user_sgpr_private_segment_size 0
		.amdhsa_uses_dynamic_stack 0
		.amdhsa_enable_private_segment 0
		.amdhsa_system_sgpr_workgroup_id_x 1
		.amdhsa_system_sgpr_workgroup_id_y 0
		.amdhsa_system_sgpr_workgroup_id_z 0
		.amdhsa_system_sgpr_workgroup_info 0
		.amdhsa_system_vgpr_workitem_id 0
		.amdhsa_next_free_vgpr 78
		.amdhsa_next_free_sgpr 28
		.amdhsa_accum_offset 80
		.amdhsa_reserve_vcc 1
		.amdhsa_float_round_mode_32 0
		.amdhsa_float_round_mode_16_64 0
		.amdhsa_float_denorm_mode_32 3
		.amdhsa_float_denorm_mode_16_64 3
		.amdhsa_dx10_clamp 1
		.amdhsa_ieee_mode 1
		.amdhsa_fp16_overflow 0
		.amdhsa_tg_split 0
		.amdhsa_exception_fp_ieee_invalid_op 0
		.amdhsa_exception_fp_denorm_src 0
		.amdhsa_exception_fp_ieee_div_zero 0
		.amdhsa_exception_fp_ieee_overflow 0
		.amdhsa_exception_fp_ieee_underflow 0
		.amdhsa_exception_fp_ieee_inexact 0
		.amdhsa_exception_int_div_zero 0
	.end_amdhsa_kernel
	.text
.Lfunc_end0:
	.size	fft_rtc_back_len768_factors_16_3_16_wgs_48_tpt_48_halfLds_sp_op_CI_CI_unitstride_sbrr_dirReg, .Lfunc_end0-fft_rtc_back_len768_factors_16_3_16_wgs_48_tpt_48_halfLds_sp_op_CI_CI_unitstride_sbrr_dirReg
                                        ; -- End function
	.section	.AMDGPU.csdata,"",@progbits
; Kernel info:
; codeLenInByte = 6304
; NumSgprs: 34
; NumVgprs: 78
; NumAgprs: 0
; TotalNumVgprs: 78
; ScratchSize: 0
; MemoryBound: 0
; FloatMode: 240
; IeeeMode: 1
; LDSByteSize: 0 bytes/workgroup (compile time only)
; SGPRBlocks: 4
; VGPRBlocks: 9
; NumSGPRsForWavesPerEU: 34
; NumVGPRsForWavesPerEU: 78
; AccumOffset: 80
; Occupancy: 6
; WaveLimiterHint : 1
; COMPUTE_PGM_RSRC2:SCRATCH_EN: 0
; COMPUTE_PGM_RSRC2:USER_SGPR: 2
; COMPUTE_PGM_RSRC2:TRAP_HANDLER: 0
; COMPUTE_PGM_RSRC2:TGID_X_EN: 1
; COMPUTE_PGM_RSRC2:TGID_Y_EN: 0
; COMPUTE_PGM_RSRC2:TGID_Z_EN: 0
; COMPUTE_PGM_RSRC2:TIDIG_COMP_CNT: 0
; COMPUTE_PGM_RSRC3_GFX90A:ACCUM_OFFSET: 19
; COMPUTE_PGM_RSRC3_GFX90A:TG_SPLIT: 0
	.text
	.p2alignl 6, 3212836864
	.fill 256, 4, 3212836864
	.type	__hip_cuid_9c1ab2a5da97a9c7,@object ; @__hip_cuid_9c1ab2a5da97a9c7
	.section	.bss,"aw",@nobits
	.globl	__hip_cuid_9c1ab2a5da97a9c7
__hip_cuid_9c1ab2a5da97a9c7:
	.byte	0                               ; 0x0
	.size	__hip_cuid_9c1ab2a5da97a9c7, 1

	.ident	"AMD clang version 19.0.0git (https://github.com/RadeonOpenCompute/llvm-project roc-6.4.0 25133 c7fe45cf4b819c5991fe208aaa96edf142730f1d)"
	.section	".note.GNU-stack","",@progbits
	.addrsig
	.addrsig_sym __hip_cuid_9c1ab2a5da97a9c7
	.amdgpu_metadata
---
amdhsa.kernels:
  - .agpr_count:     0
    .args:
      - .actual_access:  read_only
        .address_space:  global
        .offset:         0
        .size:           8
        .value_kind:     global_buffer
      - .offset:         8
        .size:           8
        .value_kind:     by_value
      - .actual_access:  read_only
        .address_space:  global
        .offset:         16
        .size:           8
        .value_kind:     global_buffer
      - .actual_access:  read_only
        .address_space:  global
        .offset:         24
        .size:           8
        .value_kind:     global_buffer
      - .actual_access:  read_only
        .address_space:  global
        .offset:         32
        .size:           8
        .value_kind:     global_buffer
      - .offset:         40
        .size:           8
        .value_kind:     by_value
      - .actual_access:  read_only
        .address_space:  global
        .offset:         48
        .size:           8
        .value_kind:     global_buffer
      - .actual_access:  read_only
        .address_space:  global
        .offset:         56
        .size:           8
        .value_kind:     global_buffer
      - .offset:         64
        .size:           4
        .value_kind:     by_value
      - .actual_access:  read_only
        .address_space:  global
        .offset:         72
        .size:           8
        .value_kind:     global_buffer
      - .actual_access:  read_only
        .address_space:  global
        .offset:         80
        .size:           8
        .value_kind:     global_buffer
      - .actual_access:  read_only
        .address_space:  global
        .offset:         88
        .size:           8
        .value_kind:     global_buffer
      - .actual_access:  write_only
        .address_space:  global
        .offset:         96
        .size:           8
        .value_kind:     global_buffer
    .group_segment_fixed_size: 0
    .kernarg_segment_align: 8
    .kernarg_segment_size: 104
    .language:       OpenCL C
    .language_version:
      - 2
      - 0
    .max_flat_workgroup_size: 48
    .name:           fft_rtc_back_len768_factors_16_3_16_wgs_48_tpt_48_halfLds_sp_op_CI_CI_unitstride_sbrr_dirReg
    .private_segment_fixed_size: 0
    .sgpr_count:     34
    .sgpr_spill_count: 0
    .symbol:         fft_rtc_back_len768_factors_16_3_16_wgs_48_tpt_48_halfLds_sp_op_CI_CI_unitstride_sbrr_dirReg.kd
    .uniform_work_group_size: 1
    .uses_dynamic_stack: false
    .vgpr_count:     78
    .vgpr_spill_count: 0
    .wavefront_size: 64
amdhsa.target:   amdgcn-amd-amdhsa--gfx950
amdhsa.version:
  - 1
  - 2
...

	.end_amdgpu_metadata
